;; amdgpu-corpus repo=zjin-lcf/HeCBench kind=compiled arch=gfx950 opt=O3
	.amdgcn_target "amdgcn-amd-amdhsa--gfx950"
	.amdhsa_code_object_version 6
	.text
	.protected	_Z22add_kernel_interleavedP13INTERLEAVED_TPKS_j ; -- Begin function _Z22add_kernel_interleavedP13INTERLEAVED_TPKS_j
	.globl	_Z22add_kernel_interleavedP13INTERLEAVED_TPKS_j
	.p2align	8
	.type	_Z22add_kernel_interleavedP13INTERLEAVED_TPKS_j,@function
_Z22add_kernel_interleavedP13INTERLEAVED_TPKS_j: ; @_Z22add_kernel_interleavedP13INTERLEAVED_TPKS_j
; %bb.0:
	s_load_dword s3, s[0:1], 0x24
	s_load_dword s4, s[0:1], 0x10
	s_waitcnt lgkmcnt(0)
	s_and_b32 s3, s3, 0xffff
	s_mul_i32 s2, s2, s3
	v_add_u32_e32 v0, s2, v0
	v_cmp_gt_u32_e32 vcc, s4, v0
	s_and_saveexec_b64 s[2:3], vcc
	s_cbranch_execz .LBB0_3
; %bb.1:
	s_load_dwordx4 s[0:3], s[0:1], 0x0
	v_mov_b32_e32 v1, 0
	v_lshlrev_b64 v[18:19], 6, v[0:1]
	s_waitcnt lgkmcnt(0)
	v_lshl_add_u64 v[16:17], s[0:1], 0, v[18:19]
	global_load_dwordx4 v[8:11], v[16:17], off offset:48
	global_load_dwordx4 v[12:15], v[16:17], off offset:32
	;; [unrolled: 1-line block ×3, first 2 shown]
	global_load_dwordx4 v[0:3], v[16:17], off
	v_lshl_add_u64 v[18:19], s[2:3], 0, v[18:19]
	s_movk_i32 s0, 0x1000
.LBB0_2:                                ; =>This Inner Loop Header: Depth=1
	global_load_dwordx2 v[20:21], v[18:19], off
	s_add_i32 s0, s0, -4
	s_cmp_lg_u32 s0, 0
	s_waitcnt vmcnt(0)
	v_add_u32_e32 v1, v1, v21
	v_add_u32_e32 v0, v0, v20
	global_store_dwordx2 v[16:17], v[0:1], off
	global_load_dwordx2 v[20:21], v[18:19], off offset:8
	s_waitcnt vmcnt(0)
	v_add_u32_e32 v3, v3, v21
	v_add_u32_e32 v2, v2, v20
	global_store_dwordx2 v[16:17], v[2:3], off offset:8
	global_load_dwordx2 v[20:21], v[18:19], off offset:16
	s_waitcnt vmcnt(0)
	v_add_u32_e32 v5, v5, v21
	v_add_u32_e32 v4, v4, v20
	global_store_dwordx2 v[16:17], v[4:5], off offset:16
	global_load_dwordx2 v[20:21], v[18:19], off offset:24
	s_waitcnt vmcnt(0)
	v_add_u32_e32 v7, v7, v21
	v_add_u32_e32 v6, v6, v20
	global_store_dwordx2 v[16:17], v[6:7], off offset:24
	global_load_dwordx2 v[20:21], v[18:19], off offset:32
	s_waitcnt vmcnt(0)
	v_add_u32_e32 v13, v13, v21
	v_add_u32_e32 v12, v12, v20
	global_store_dwordx2 v[16:17], v[12:13], off offset:32
	global_load_dwordx2 v[20:21], v[18:19], off offset:40
	s_waitcnt vmcnt(0)
	v_add_u32_e32 v15, v15, v21
	v_add_u32_e32 v14, v14, v20
	global_store_dwordx2 v[16:17], v[14:15], off offset:40
	global_load_dwordx2 v[20:21], v[18:19], off offset:48
	s_waitcnt vmcnt(0)
	v_add_u32_e32 v9, v9, v21
	v_add_u32_e32 v8, v8, v20
	global_store_dwordx2 v[16:17], v[8:9], off offset:48
	global_load_dwordx2 v[20:21], v[18:19], off offset:56
	s_waitcnt vmcnt(0)
	v_add_u32_e32 v11, v11, v21
	v_add_u32_e32 v10, v10, v20
	global_store_dwordx2 v[16:17], v[10:11], off offset:56
	global_load_dwordx2 v[20:21], v[18:19], off
	s_waitcnt vmcnt(0)
	v_add_u32_e32 v1, v1, v21
	v_add_u32_e32 v0, v0, v20
	global_store_dwordx2 v[16:17], v[0:1], off
	global_load_dwordx2 v[20:21], v[18:19], off offset:8
	s_waitcnt vmcnt(0)
	v_add_u32_e32 v3, v3, v21
	v_add_u32_e32 v2, v2, v20
	global_store_dwordx2 v[16:17], v[2:3], off offset:8
	global_load_dwordx2 v[20:21], v[18:19], off offset:16
	s_waitcnt vmcnt(0)
	v_add_u32_e32 v5, v5, v21
	v_add_u32_e32 v4, v4, v20
	global_store_dwordx2 v[16:17], v[4:5], off offset:16
	global_load_dwordx2 v[20:21], v[18:19], off offset:24
	s_waitcnt vmcnt(0)
	v_add_u32_e32 v7, v7, v21
	v_add_u32_e32 v6, v6, v20
	global_store_dwordx2 v[16:17], v[6:7], off offset:24
	global_load_dwordx2 v[20:21], v[18:19], off offset:32
	s_waitcnt vmcnt(0)
	v_add_u32_e32 v13, v13, v21
	v_add_u32_e32 v12, v12, v20
	global_store_dwordx2 v[16:17], v[12:13], off offset:32
	global_load_dwordx2 v[20:21], v[18:19], off offset:40
	s_waitcnt vmcnt(0)
	v_add_u32_e32 v15, v15, v21
	v_add_u32_e32 v14, v14, v20
	global_store_dwordx2 v[16:17], v[14:15], off offset:40
	global_load_dwordx2 v[20:21], v[18:19], off offset:48
	s_waitcnt vmcnt(0)
	v_add_u32_e32 v9, v9, v21
	v_add_u32_e32 v8, v8, v20
	global_store_dwordx2 v[16:17], v[8:9], off offset:48
	global_load_dwordx2 v[20:21], v[18:19], off offset:56
	s_waitcnt vmcnt(0)
	v_add_u32_e32 v11, v11, v21
	v_add_u32_e32 v10, v10, v20
	global_store_dwordx2 v[16:17], v[10:11], off offset:56
	global_load_dwordx2 v[20:21], v[18:19], off
	;; [unrolled: 40-line block ×3, first 2 shown]
	s_waitcnt vmcnt(0)
	v_add_u32_e32 v1, v1, v21
	v_add_u32_e32 v0, v0, v20
	global_store_dwordx2 v[16:17], v[0:1], off
	global_load_dwordx2 v[20:21], v[18:19], off offset:8
	s_waitcnt vmcnt(0)
	v_add_u32_e32 v3, v3, v21
	v_add_u32_e32 v2, v2, v20
	global_store_dwordx2 v[16:17], v[2:3], off offset:8
	global_load_dwordx2 v[20:21], v[18:19], off offset:16
	s_waitcnt vmcnt(0)
	v_add_u32_e32 v5, v5, v21
	v_add_u32_e32 v4, v4, v20
	global_store_dwordx2 v[16:17], v[4:5], off offset:16
	global_load_dwordx2 v[20:21], v[18:19], off offset:24
	s_waitcnt vmcnt(0)
	v_add_u32_e32 v7, v7, v21
	v_add_u32_e32 v6, v6, v20
	global_store_dwordx2 v[16:17], v[6:7], off offset:24
	global_load_dwordx2 v[20:21], v[18:19], off offset:32
	s_waitcnt vmcnt(0)
	v_add_u32_e32 v13, v13, v21
	v_add_u32_e32 v12, v12, v20
	global_store_dwordx2 v[16:17], v[12:13], off offset:32
	global_load_dwordx2 v[20:21], v[18:19], off offset:40
	s_waitcnt vmcnt(0)
	v_add_u32_e32 v15, v15, v21
	v_add_u32_e32 v14, v14, v20
	global_store_dwordx2 v[16:17], v[14:15], off offset:40
	global_load_dwordx2 v[20:21], v[18:19], off offset:48
	s_waitcnt vmcnt(0)
	v_add_u32_e32 v9, v9, v21
	v_add_u32_e32 v8, v8, v20
	global_store_dwordx2 v[16:17], v[8:9], off offset:48
	global_load_dwordx2 v[20:21], v[18:19], off offset:56
	s_waitcnt vmcnt(0)
	v_add_u32_e32 v11, v11, v21
	v_add_u32_e32 v10, v10, v20
	global_store_dwordx2 v[16:17], v[10:11], off offset:56
	s_cbranch_scc1 .LBB0_2
.LBB0_3:
	s_endpgm
	.section	.rodata,"a",@progbits
	.p2align	6, 0x0
	.amdhsa_kernel _Z22add_kernel_interleavedP13INTERLEAVED_TPKS_j
		.amdhsa_group_segment_fixed_size 0
		.amdhsa_private_segment_fixed_size 0
		.amdhsa_kernarg_size 280
		.amdhsa_user_sgpr_count 2
		.amdhsa_user_sgpr_dispatch_ptr 0
		.amdhsa_user_sgpr_queue_ptr 0
		.amdhsa_user_sgpr_kernarg_segment_ptr 1
		.amdhsa_user_sgpr_dispatch_id 0
		.amdhsa_user_sgpr_kernarg_preload_length 0
		.amdhsa_user_sgpr_kernarg_preload_offset 0
		.amdhsa_user_sgpr_private_segment_size 0
		.amdhsa_uses_dynamic_stack 0
		.amdhsa_enable_private_segment 0
		.amdhsa_system_sgpr_workgroup_id_x 1
		.amdhsa_system_sgpr_workgroup_id_y 0
		.amdhsa_system_sgpr_workgroup_id_z 0
		.amdhsa_system_sgpr_workgroup_info 0
		.amdhsa_system_vgpr_workitem_id 0
		.amdhsa_next_free_vgpr 22
		.amdhsa_next_free_sgpr 5
		.amdhsa_accum_offset 24
		.amdhsa_reserve_vcc 1
		.amdhsa_float_round_mode_32 0
		.amdhsa_float_round_mode_16_64 0
		.amdhsa_float_denorm_mode_32 3
		.amdhsa_float_denorm_mode_16_64 3
		.amdhsa_dx10_clamp 1
		.amdhsa_ieee_mode 1
		.amdhsa_fp16_overflow 0
		.amdhsa_tg_split 0
		.amdhsa_exception_fp_ieee_invalid_op 0
		.amdhsa_exception_fp_denorm_src 0
		.amdhsa_exception_fp_ieee_div_zero 0
		.amdhsa_exception_fp_ieee_overflow 0
		.amdhsa_exception_fp_ieee_underflow 0
		.amdhsa_exception_fp_ieee_inexact 0
		.amdhsa_exception_int_div_zero 0
	.end_amdhsa_kernel
	.text
.Lfunc_end0:
	.size	_Z22add_kernel_interleavedP13INTERLEAVED_TPKS_j, .Lfunc_end0-_Z22add_kernel_interleavedP13INTERLEAVED_TPKS_j
                                        ; -- End function
	.set _Z22add_kernel_interleavedP13INTERLEAVED_TPKS_j.num_vgpr, 22
	.set _Z22add_kernel_interleavedP13INTERLEAVED_TPKS_j.num_agpr, 0
	.set _Z22add_kernel_interleavedP13INTERLEAVED_TPKS_j.numbered_sgpr, 5
	.set _Z22add_kernel_interleavedP13INTERLEAVED_TPKS_j.num_named_barrier, 0
	.set _Z22add_kernel_interleavedP13INTERLEAVED_TPKS_j.private_seg_size, 0
	.set _Z22add_kernel_interleavedP13INTERLEAVED_TPKS_j.uses_vcc, 1
	.set _Z22add_kernel_interleavedP13INTERLEAVED_TPKS_j.uses_flat_scratch, 0
	.set _Z22add_kernel_interleavedP13INTERLEAVED_TPKS_j.has_dyn_sized_stack, 0
	.set _Z22add_kernel_interleavedP13INTERLEAVED_TPKS_j.has_recursion, 0
	.set _Z22add_kernel_interleavedP13INTERLEAVED_TPKS_j.has_indirect_call, 0
	.section	.AMDGPU.csdata,"",@progbits
; Kernel info:
; codeLenInByte = 1036
; TotalNumSgprs: 11
; NumVgprs: 22
; NumAgprs: 0
; TotalNumVgprs: 22
; ScratchSize: 0
; MemoryBound: 1
; FloatMode: 240
; IeeeMode: 1
; LDSByteSize: 0 bytes/workgroup (compile time only)
; SGPRBlocks: 1
; VGPRBlocks: 2
; NumSGPRsForWavesPerEU: 11
; NumVGPRsForWavesPerEU: 22
; AccumOffset: 24
; Occupancy: 8
; WaveLimiterHint : 1
; COMPUTE_PGM_RSRC2:SCRATCH_EN: 0
; COMPUTE_PGM_RSRC2:USER_SGPR: 2
; COMPUTE_PGM_RSRC2:TRAP_HANDLER: 0
; COMPUTE_PGM_RSRC2:TGID_X_EN: 1
; COMPUTE_PGM_RSRC2:TGID_Y_EN: 0
; COMPUTE_PGM_RSRC2:TGID_Z_EN: 0
; COMPUTE_PGM_RSRC2:TIDIG_COMP_CNT: 0
; COMPUTE_PGM_RSRC3_GFX90A:ACCUM_OFFSET: 5
; COMPUTE_PGM_RSRC3_GFX90A:TG_SPLIT: 0
	.text
	.protected	_Z26add_kernel_non_interleavedP17NON_INTERLEAVED_TPKS_j ; -- Begin function _Z26add_kernel_non_interleavedP17NON_INTERLEAVED_TPKS_j
	.globl	_Z26add_kernel_non_interleavedP17NON_INTERLEAVED_TPKS_j
	.p2align	8
	.type	_Z26add_kernel_non_interleavedP17NON_INTERLEAVED_TPKS_j,@function
_Z26add_kernel_non_interleavedP17NON_INTERLEAVED_TPKS_j: ; @_Z26add_kernel_non_interleavedP17NON_INTERLEAVED_TPKS_j
; %bb.0:
	s_load_dword s3, s[0:1], 0x24
	s_load_dword s4, s[0:1], 0x10
	s_waitcnt lgkmcnt(0)
	s_and_b32 s3, s3, 0xffff
	s_mul_i32 s2, s2, s3
	v_add_u32_e32 v0, s2, v0
	v_cmp_gt_u32_e32 vcc, s4, v0
	s_and_saveexec_b64 s[2:3], vcc
	s_cbranch_execz .LBB1_3
; %bb.1:
	s_load_dwordx4 s[0:3], s[0:1], 0x0
	v_mov_b32_e32 v1, 0
	v_lshlrev_b64 v[2:3], 2, v[0:1]
	s_movk_i32 s4, 0x4000
	s_mov_b64 s[6:7], 0x34000
	s_waitcnt lgkmcnt(0)
	v_lshl_add_u64 v[0:1], s[0:1], 0, v[2:3]
	v_add_co_u32_e32 v4, vcc, s4, v0
	s_mov_b32 s0, 0x8000
	s_nop 0
	v_addc_co_u32_e32 v5, vcc, 0, v1, vcc
	v_add_co_u32_e32 v6, vcc, s0, v0
	s_mov_b32 s0, 0xc000
	s_nop 0
	v_addc_co_u32_e32 v7, vcc, 0, v1, vcc
	v_add_co_u32_e32 v8, vcc, s0, v0
	s_mov_b32 s0, 0x10000
	s_nop 0
	v_addc_co_u32_e32 v9, vcc, 0, v1, vcc
	v_add_co_u32_e32 v10, vcc, s0, v0
	s_mov_b32 s0, 0x14000
	s_nop 0
	v_addc_co_u32_e32 v11, vcc, 0, v1, vcc
	v_add_co_u32_e32 v12, vcc, s0, v0
	s_mov_b32 s0, 0x18000
	s_nop 0
	v_addc_co_u32_e32 v13, vcc, 0, v1, vcc
	v_add_co_u32_e32 v14, vcc, s0, v0
	s_mov_b32 s0, 0x1c000
	s_nop 0
	v_addc_co_u32_e32 v15, vcc, 0, v1, vcc
	v_add_co_u32_e32 v16, vcc, s0, v0
	s_mov_b32 s0, 0x20000
	s_nop 0
	v_addc_co_u32_e32 v17, vcc, 0, v1, vcc
	global_load_dword v64, v[0:1], off
	global_load_dword v65, v[4:5], off
	;; [unrolled: 1-line block ×8, first 2 shown]
	v_add_co_u32_e32 v4, vcc, s0, v0
	s_mov_b32 s0, 0x24000
	s_nop 0
	v_addc_co_u32_e32 v5, vcc, 0, v1, vcc
	v_add_co_u32_e32 v6, vcc, s0, v0
	s_mov_b32 s0, 0x28000
	s_nop 0
	v_addc_co_u32_e32 v7, vcc, 0, v1, vcc
	;; [unrolled: 4-line block ×5, first 2 shown]
	v_add_co_u32_e32 v14, vcc, s0, v0
	v_lshl_add_u64 v[2:3], s[2:3], 0, v[2:3]
	s_nop 0
	v_addc_co_u32_e32 v15, vcc, 0, v1, vcc
	v_add_co_u32_e32 v16, vcc, 0x38000, v0
	s_mov_b64 s[0:1], 0x4000
	s_nop 0
	v_addc_co_u32_e32 v17, vcc, 0, v1, vcc
	v_add_co_u32_e32 v18, vcc, 0x3c000, v0
	s_mov_b64 s[2:3], 0x2c000
	s_nop 0
	v_addc_co_u32_e32 v19, vcc, 0, v1, vcc
	global_load_dword v72, v[4:5], off
	global_load_dword v73, v[6:7], off
	;; [unrolled: 1-line block ×8, first 2 shown]
	v_lshl_add_u64 v[4:5], v[2:3], 0, s[0:1]
	v_lshl_add_u64 v[6:7], v[0:1], 0, s[0:1]
	s_mov_b64 s[0:1], 0x8000
	v_lshl_add_u64 v[8:9], v[2:3], 0, s[0:1]
	v_lshl_add_u64 v[10:11], v[0:1], 0, s[0:1]
	s_mov_b64 s[0:1], 0xc000
	;; [unrolled: 3-line block ×9, first 2 shown]
	s_mov_b64 s[4:5], 0x30000
	s_mov_b64 s[8:9], 0x38000
	;; [unrolled: 1-line block ×3, first 2 shown]
	v_lshl_add_u64 v[40:41], v[2:3], 0, s[0:1]
	v_lshl_add_u64 v[42:43], v[0:1], 0, s[0:1]
	s_movk_i32 s0, 0x1000
	v_lshl_add_u64 v[44:45], v[2:3], 0, s[2:3]
	v_lshl_add_u64 v[46:47], v[0:1], 0, s[2:3]
	;; [unrolled: 1-line block ×10, first 2 shown]
.LBB1_2:                                ; =>This Inner Loop Header: Depth=1
	global_load_dword v80, v[2:3], off
	s_add_i32 s0, s0, -2
	s_cmp_lg_u32 s0, 0
	s_waitcnt vmcnt(0)
	v_add_u32_e32 v64, v64, v80
	global_store_dword v[0:1], v64, off
	global_load_dword v80, v[4:5], off
	s_waitcnt vmcnt(0)
	v_add_u32_e32 v65, v65, v80
	global_store_dword v[6:7], v65, off
	global_load_dword v80, v[8:9], off
	;; [unrolled: 4-line block ×31, first 2 shown]
	s_waitcnt vmcnt(0)
	v_add_u32_e32 v79, v79, v80
	global_store_dword v[62:63], v79, off
	s_cbranch_scc1 .LBB1_2
.LBB1_3:
	s_endpgm
	.section	.rodata,"a",@progbits
	.p2align	6, 0x0
	.amdhsa_kernel _Z26add_kernel_non_interleavedP17NON_INTERLEAVED_TPKS_j
		.amdhsa_group_segment_fixed_size 0
		.amdhsa_private_segment_fixed_size 0
		.amdhsa_kernarg_size 280
		.amdhsa_user_sgpr_count 2
		.amdhsa_user_sgpr_dispatch_ptr 0
		.amdhsa_user_sgpr_queue_ptr 0
		.amdhsa_user_sgpr_kernarg_segment_ptr 1
		.amdhsa_user_sgpr_dispatch_id 0
		.amdhsa_user_sgpr_kernarg_preload_length 0
		.amdhsa_user_sgpr_kernarg_preload_offset 0
		.amdhsa_user_sgpr_private_segment_size 0
		.amdhsa_uses_dynamic_stack 0
		.amdhsa_enable_private_segment 0
		.amdhsa_system_sgpr_workgroup_id_x 1
		.amdhsa_system_sgpr_workgroup_id_y 0
		.amdhsa_system_sgpr_workgroup_id_z 0
		.amdhsa_system_sgpr_workgroup_info 0
		.amdhsa_system_vgpr_workitem_id 0
		.amdhsa_next_free_vgpr 81
		.amdhsa_next_free_sgpr 12
		.amdhsa_accum_offset 84
		.amdhsa_reserve_vcc 1
		.amdhsa_float_round_mode_32 0
		.amdhsa_float_round_mode_16_64 0
		.amdhsa_float_denorm_mode_32 3
		.amdhsa_float_denorm_mode_16_64 3
		.amdhsa_dx10_clamp 1
		.amdhsa_ieee_mode 1
		.amdhsa_fp16_overflow 0
		.amdhsa_tg_split 0
		.amdhsa_exception_fp_ieee_invalid_op 0
		.amdhsa_exception_fp_denorm_src 0
		.amdhsa_exception_fp_ieee_div_zero 0
		.amdhsa_exception_fp_ieee_overflow 0
		.amdhsa_exception_fp_ieee_underflow 0
		.amdhsa_exception_fp_ieee_inexact 0
		.amdhsa_exception_int_div_zero 0
	.end_amdhsa_kernel
	.text
.Lfunc_end1:
	.size	_Z26add_kernel_non_interleavedP17NON_INTERLEAVED_TPKS_j, .Lfunc_end1-_Z26add_kernel_non_interleavedP17NON_INTERLEAVED_TPKS_j
                                        ; -- End function
	.set _Z26add_kernel_non_interleavedP17NON_INTERLEAVED_TPKS_j.num_vgpr, 81
	.set _Z26add_kernel_non_interleavedP17NON_INTERLEAVED_TPKS_j.num_agpr, 0
	.set _Z26add_kernel_non_interleavedP17NON_INTERLEAVED_TPKS_j.numbered_sgpr, 12
	.set _Z26add_kernel_non_interleavedP17NON_INTERLEAVED_TPKS_j.num_named_barrier, 0
	.set _Z26add_kernel_non_interleavedP17NON_INTERLEAVED_TPKS_j.private_seg_size, 0
	.set _Z26add_kernel_non_interleavedP17NON_INTERLEAVED_TPKS_j.uses_vcc, 1
	.set _Z26add_kernel_non_interleavedP17NON_INTERLEAVED_TPKS_j.uses_flat_scratch, 0
	.set _Z26add_kernel_non_interleavedP17NON_INTERLEAVED_TPKS_j.has_dyn_sized_stack, 0
	.set _Z26add_kernel_non_interleavedP17NON_INTERLEAVED_TPKS_j.has_recursion, 0
	.set _Z26add_kernel_non_interleavedP17NON_INTERLEAVED_TPKS_j.has_indirect_call, 0
	.section	.AMDGPU.csdata,"",@progbits
; Kernel info:
; codeLenInByte = 1652
; TotalNumSgprs: 18
; NumVgprs: 81
; NumAgprs: 0
; TotalNumVgprs: 81
; ScratchSize: 0
; MemoryBound: 0
; FloatMode: 240
; IeeeMode: 1
; LDSByteSize: 0 bytes/workgroup (compile time only)
; SGPRBlocks: 2
; VGPRBlocks: 10
; NumSGPRsForWavesPerEU: 18
; NumVGPRsForWavesPerEU: 81
; AccumOffset: 84
; Occupancy: 5
; WaveLimiterHint : 0
; COMPUTE_PGM_RSRC2:SCRATCH_EN: 0
; COMPUTE_PGM_RSRC2:USER_SGPR: 2
; COMPUTE_PGM_RSRC2:TRAP_HANDLER: 0
; COMPUTE_PGM_RSRC2:TGID_X_EN: 1
; COMPUTE_PGM_RSRC2:TGID_Y_EN: 0
; COMPUTE_PGM_RSRC2:TGID_Z_EN: 0
; COMPUTE_PGM_RSRC2:TIDIG_COMP_CNT: 0
; COMPUTE_PGM_RSRC3_GFX90A:ACCUM_OFFSET: 20
; COMPUTE_PGM_RSRC3_GFX90A:TG_SPLIT: 0
	.text
	.p2alignl 6, 3212836864
	.fill 256, 4, 3212836864
	.section	.AMDGPU.gpr_maximums,"",@progbits
	.set amdgpu.max_num_vgpr, 0
	.set amdgpu.max_num_agpr, 0
	.set amdgpu.max_num_sgpr, 0
	.text
	.type	__hip_cuid_768abb9808e7a898,@object ; @__hip_cuid_768abb9808e7a898
	.section	.bss,"aw",@nobits
	.globl	__hip_cuid_768abb9808e7a898
__hip_cuid_768abb9808e7a898:
	.byte	0                               ; 0x0
	.size	__hip_cuid_768abb9808e7a898, 1

	.ident	"AMD clang version 22.0.0git (https://github.com/RadeonOpenCompute/llvm-project roc-7.2.4 26084 f58b06dce1f9c15707c5f808fd002e18c2accf7e)"
	.section	".note.GNU-stack","",@progbits
	.addrsig
	.addrsig_sym __hip_cuid_768abb9808e7a898
	.amdgpu_metadata
---
amdhsa.kernels:
  - .agpr_count:     0
    .args:
      - .address_space:  global
        .offset:         0
        .size:           8
        .value_kind:     global_buffer
      - .address_space:  global
        .offset:         8
        .size:           8
        .value_kind:     global_buffer
      - .offset:         16
        .size:           4
        .value_kind:     by_value
      - .offset:         24
        .size:           4
        .value_kind:     hidden_block_count_x
      - .offset:         28
        .size:           4
        .value_kind:     hidden_block_count_y
      - .offset:         32
        .size:           4
        .value_kind:     hidden_block_count_z
      - .offset:         36
        .size:           2
        .value_kind:     hidden_group_size_x
      - .offset:         38
        .size:           2
        .value_kind:     hidden_group_size_y
      - .offset:         40
        .size:           2
        .value_kind:     hidden_group_size_z
      - .offset:         42
        .size:           2
        .value_kind:     hidden_remainder_x
      - .offset:         44
        .size:           2
        .value_kind:     hidden_remainder_y
      - .offset:         46
        .size:           2
        .value_kind:     hidden_remainder_z
      - .offset:         64
        .size:           8
        .value_kind:     hidden_global_offset_x
      - .offset:         72
        .size:           8
        .value_kind:     hidden_global_offset_y
      - .offset:         80
        .size:           8
        .value_kind:     hidden_global_offset_z
      - .offset:         88
        .size:           2
        .value_kind:     hidden_grid_dims
    .group_segment_fixed_size: 0
    .kernarg_segment_align: 8
    .kernarg_segment_size: 280
    .language:       OpenCL C
    .language_version:
      - 2
      - 0
    .max_flat_workgroup_size: 1024
    .name:           _Z22add_kernel_interleavedP13INTERLEAVED_TPKS_j
    .private_segment_fixed_size: 0
    .sgpr_count:     11
    .sgpr_spill_count: 0
    .symbol:         _Z22add_kernel_interleavedP13INTERLEAVED_TPKS_j.kd
    .uniform_work_group_size: 1
    .uses_dynamic_stack: false
    .vgpr_count:     22
    .vgpr_spill_count: 0
    .wavefront_size: 64
  - .agpr_count:     0
    .args:
      - .address_space:  global
        .offset:         0
        .size:           8
        .value_kind:     global_buffer
      - .address_space:  global
        .offset:         8
        .size:           8
        .value_kind:     global_buffer
      - .offset:         16
        .size:           4
        .value_kind:     by_value
      - .offset:         24
        .size:           4
        .value_kind:     hidden_block_count_x
      - .offset:         28
        .size:           4
        .value_kind:     hidden_block_count_y
      - .offset:         32
        .size:           4
        .value_kind:     hidden_block_count_z
      - .offset:         36
        .size:           2
        .value_kind:     hidden_group_size_x
      - .offset:         38
        .size:           2
        .value_kind:     hidden_group_size_y
      - .offset:         40
        .size:           2
        .value_kind:     hidden_group_size_z
      - .offset:         42
        .size:           2
        .value_kind:     hidden_remainder_x
      - .offset:         44
        .size:           2
        .value_kind:     hidden_remainder_y
      - .offset:         46
        .size:           2
        .value_kind:     hidden_remainder_z
      - .offset:         64
        .size:           8
        .value_kind:     hidden_global_offset_x
      - .offset:         72
        .size:           8
        .value_kind:     hidden_global_offset_y
      - .offset:         80
        .size:           8
        .value_kind:     hidden_global_offset_z
      - .offset:         88
        .size:           2
        .value_kind:     hidden_grid_dims
    .group_segment_fixed_size: 0
    .kernarg_segment_align: 8
    .kernarg_segment_size: 280
    .language:       OpenCL C
    .language_version:
      - 2
      - 0
    .max_flat_workgroup_size: 1024
    .name:           _Z26add_kernel_non_interleavedP17NON_INTERLEAVED_TPKS_j
    .private_segment_fixed_size: 0
    .sgpr_count:     18
    .sgpr_spill_count: 0
    .symbol:         _Z26add_kernel_non_interleavedP17NON_INTERLEAVED_TPKS_j.kd
    .uniform_work_group_size: 1
    .uses_dynamic_stack: false
    .vgpr_count:     81
    .vgpr_spill_count: 0
    .wavefront_size: 64
amdhsa.target:   amdgcn-amd-amdhsa--gfx950
amdhsa.version:
  - 1
  - 2
...

	.end_amdgpu_metadata
